;; amdgpu-corpus repo=ROCm/rocFFT kind=compiled arch=gfx906 opt=O3
	.text
	.amdgcn_target "amdgcn-amd-amdhsa--gfx906"
	.amdhsa_code_object_version 6
	.protected	fft_rtc_fwd_len1617_factors_3_7_7_11_wgs_231_tpt_231_sp_op_CI_CI_sbrr_dirReg ; -- Begin function fft_rtc_fwd_len1617_factors_3_7_7_11_wgs_231_tpt_231_sp_op_CI_CI_sbrr_dirReg
	.globl	fft_rtc_fwd_len1617_factors_3_7_7_11_wgs_231_tpt_231_sp_op_CI_CI_sbrr_dirReg
	.p2align	8
	.type	fft_rtc_fwd_len1617_factors_3_7_7_11_wgs_231_tpt_231_sp_op_CI_CI_sbrr_dirReg,@function
fft_rtc_fwd_len1617_factors_3_7_7_11_wgs_231_tpt_231_sp_op_CI_CI_sbrr_dirReg: ; @fft_rtc_fwd_len1617_factors_3_7_7_11_wgs_231_tpt_231_sp_op_CI_CI_sbrr_dirReg
; %bb.0:
	s_load_dwordx4 s[16:19], s[4:5], 0x18
	s_load_dwordx4 s[12:15], s[4:5], 0x0
	;; [unrolled: 1-line block ×3, first 2 shown]
	v_mul_u32_u24_e32 v1, 0x11c, v0
	v_add_u32_sdwa v5, s6, v1 dst_sel:DWORD dst_unused:UNUSED_PAD src0_sel:DWORD src1_sel:WORD_1
	s_waitcnt lgkmcnt(0)
	s_load_dwordx2 s[2:3], s[16:17], 0x0
	s_load_dwordx2 s[20:21], s[18:19], 0x0
	v_cmp_lt_u64_e64 s[0:1], s[14:15], 2
	v_mov_b32_e32 v3, 0
	v_mov_b32_e32 v1, 0
	;; [unrolled: 1-line block ×3, first 2 shown]
	s_and_b64 vcc, exec, s[0:1]
	v_mov_b32_e32 v2, 0
	s_cbranch_vccnz .LBB0_8
; %bb.1:
	s_load_dwordx2 s[0:1], s[4:5], 0x10
	s_add_u32 s6, s18, 8
	s_addc_u32 s7, s19, 0
	s_add_u32 s22, s16, 8
	v_mov_b32_e32 v1, 0
	s_addc_u32 s23, s17, 0
	v_mov_b32_e32 v2, 0
	s_waitcnt lgkmcnt(0)
	s_add_u32 s24, s0, 8
	v_mov_b32_e32 v21, v2
	s_addc_u32 s25, s1, 0
	s_mov_b64 s[26:27], 1
	v_mov_b32_e32 v20, v1
.LBB0_2:                                ; =>This Inner Loop Header: Depth=1
	s_load_dwordx2 s[28:29], s[24:25], 0x0
                                        ; implicit-def: $vgpr22_vgpr23
	s_waitcnt lgkmcnt(0)
	v_or_b32_e32 v4, s29, v6
	v_cmp_ne_u64_e32 vcc, 0, v[3:4]
	s_and_saveexec_b64 s[0:1], vcc
	s_xor_b64 s[30:31], exec, s[0:1]
	s_cbranch_execz .LBB0_4
; %bb.3:                                ;   in Loop: Header=BB0_2 Depth=1
	v_cvt_f32_u32_e32 v4, s28
	v_cvt_f32_u32_e32 v7, s29
	s_sub_u32 s0, 0, s28
	s_subb_u32 s1, 0, s29
	v_mac_f32_e32 v4, 0x4f800000, v7
	v_rcp_f32_e32 v4, v4
	v_mul_f32_e32 v4, 0x5f7ffffc, v4
	v_mul_f32_e32 v7, 0x2f800000, v4
	v_trunc_f32_e32 v7, v7
	v_mac_f32_e32 v4, 0xcf800000, v7
	v_cvt_u32_f32_e32 v7, v7
	v_cvt_u32_f32_e32 v4, v4
	v_mul_lo_u32 v8, s0, v7
	v_mul_hi_u32 v9, s0, v4
	v_mul_lo_u32 v11, s1, v4
	v_mul_lo_u32 v10, s0, v4
	v_add_u32_e32 v8, v9, v8
	v_add_u32_e32 v8, v8, v11
	v_mul_hi_u32 v9, v4, v10
	v_mul_lo_u32 v11, v4, v8
	v_mul_hi_u32 v13, v4, v8
	v_mul_hi_u32 v12, v7, v10
	v_mul_lo_u32 v10, v7, v10
	v_mul_hi_u32 v14, v7, v8
	v_add_co_u32_e32 v9, vcc, v9, v11
	v_addc_co_u32_e32 v11, vcc, 0, v13, vcc
	v_mul_lo_u32 v8, v7, v8
	v_add_co_u32_e32 v9, vcc, v9, v10
	v_addc_co_u32_e32 v9, vcc, v11, v12, vcc
	v_addc_co_u32_e32 v10, vcc, 0, v14, vcc
	v_add_co_u32_e32 v8, vcc, v9, v8
	v_addc_co_u32_e32 v9, vcc, 0, v10, vcc
	v_add_co_u32_e32 v4, vcc, v4, v8
	v_addc_co_u32_e32 v7, vcc, v7, v9, vcc
	v_mul_lo_u32 v8, s0, v7
	v_mul_hi_u32 v9, s0, v4
	v_mul_lo_u32 v10, s1, v4
	v_mul_lo_u32 v11, s0, v4
	v_add_u32_e32 v8, v9, v8
	v_add_u32_e32 v8, v8, v10
	v_mul_lo_u32 v12, v4, v8
	v_mul_hi_u32 v13, v4, v11
	v_mul_hi_u32 v14, v4, v8
	;; [unrolled: 1-line block ×3, first 2 shown]
	v_mul_lo_u32 v11, v7, v11
	v_mul_hi_u32 v9, v7, v8
	v_add_co_u32_e32 v12, vcc, v13, v12
	v_addc_co_u32_e32 v13, vcc, 0, v14, vcc
	v_mul_lo_u32 v8, v7, v8
	v_add_co_u32_e32 v11, vcc, v12, v11
	v_addc_co_u32_e32 v10, vcc, v13, v10, vcc
	v_addc_co_u32_e32 v9, vcc, 0, v9, vcc
	v_add_co_u32_e32 v8, vcc, v10, v8
	v_addc_co_u32_e32 v9, vcc, 0, v9, vcc
	v_add_co_u32_e32 v4, vcc, v4, v8
	v_addc_co_u32_e32 v9, vcc, v7, v9, vcc
	v_mad_u64_u32 v[7:8], s[0:1], v5, v9, 0
	v_mul_hi_u32 v10, v5, v4
	v_add_co_u32_e32 v11, vcc, v10, v7
	v_addc_co_u32_e32 v12, vcc, 0, v8, vcc
	v_mad_u64_u32 v[7:8], s[0:1], v6, v4, 0
	v_mad_u64_u32 v[9:10], s[0:1], v6, v9, 0
	v_add_co_u32_e32 v4, vcc, v11, v7
	v_addc_co_u32_e32 v4, vcc, v12, v8, vcc
	v_addc_co_u32_e32 v7, vcc, 0, v10, vcc
	v_add_co_u32_e32 v4, vcc, v4, v9
	v_addc_co_u32_e32 v9, vcc, 0, v7, vcc
	v_mul_lo_u32 v10, s29, v4
	v_mul_lo_u32 v11, s28, v9
	v_mad_u64_u32 v[7:8], s[0:1], s28, v4, 0
	v_add3_u32 v8, v8, v11, v10
	v_sub_u32_e32 v10, v6, v8
	v_mov_b32_e32 v11, s29
	v_sub_co_u32_e32 v7, vcc, v5, v7
	v_subb_co_u32_e64 v10, s[0:1], v10, v11, vcc
	v_subrev_co_u32_e64 v11, s[0:1], s28, v7
	v_subbrev_co_u32_e64 v10, s[0:1], 0, v10, s[0:1]
	v_cmp_le_u32_e64 s[0:1], s29, v10
	v_cndmask_b32_e64 v12, 0, -1, s[0:1]
	v_cmp_le_u32_e64 s[0:1], s28, v11
	v_cndmask_b32_e64 v11, 0, -1, s[0:1]
	v_cmp_eq_u32_e64 s[0:1], s29, v10
	v_cndmask_b32_e64 v10, v12, v11, s[0:1]
	v_add_co_u32_e64 v11, s[0:1], 2, v4
	v_addc_co_u32_e64 v12, s[0:1], 0, v9, s[0:1]
	v_add_co_u32_e64 v13, s[0:1], 1, v4
	v_addc_co_u32_e64 v14, s[0:1], 0, v9, s[0:1]
	v_subb_co_u32_e32 v8, vcc, v6, v8, vcc
	v_cmp_ne_u32_e64 s[0:1], 0, v10
	v_cmp_le_u32_e32 vcc, s29, v8
	v_cndmask_b32_e64 v10, v14, v12, s[0:1]
	v_cndmask_b32_e64 v12, 0, -1, vcc
	v_cmp_le_u32_e32 vcc, s28, v7
	v_cndmask_b32_e64 v7, 0, -1, vcc
	v_cmp_eq_u32_e32 vcc, s29, v8
	v_cndmask_b32_e32 v7, v12, v7, vcc
	v_cmp_ne_u32_e32 vcc, 0, v7
	v_cndmask_b32_e64 v7, v13, v11, s[0:1]
	v_cndmask_b32_e32 v23, v9, v10, vcc
	v_cndmask_b32_e32 v22, v4, v7, vcc
.LBB0_4:                                ;   in Loop: Header=BB0_2 Depth=1
	s_andn2_saveexec_b64 s[0:1], s[30:31]
	s_cbranch_execz .LBB0_6
; %bb.5:                                ;   in Loop: Header=BB0_2 Depth=1
	v_cvt_f32_u32_e32 v4, s28
	s_sub_i32 s30, 0, s28
	v_mov_b32_e32 v23, v3
	v_rcp_iflag_f32_e32 v4, v4
	v_mul_f32_e32 v4, 0x4f7ffffe, v4
	v_cvt_u32_f32_e32 v4, v4
	v_mul_lo_u32 v7, s30, v4
	v_mul_hi_u32 v7, v4, v7
	v_add_u32_e32 v4, v4, v7
	v_mul_hi_u32 v4, v5, v4
	v_mul_lo_u32 v7, v4, s28
	v_add_u32_e32 v8, 1, v4
	v_sub_u32_e32 v7, v5, v7
	v_subrev_u32_e32 v9, s28, v7
	v_cmp_le_u32_e32 vcc, s28, v7
	v_cndmask_b32_e32 v7, v7, v9, vcc
	v_cndmask_b32_e32 v4, v4, v8, vcc
	v_add_u32_e32 v8, 1, v4
	v_cmp_le_u32_e32 vcc, s28, v7
	v_cndmask_b32_e32 v22, v4, v8, vcc
.LBB0_6:                                ;   in Loop: Header=BB0_2 Depth=1
	s_or_b64 exec, exec, s[0:1]
	v_mul_lo_u32 v4, v23, s28
	v_mul_lo_u32 v9, v22, s29
	v_mad_u64_u32 v[7:8], s[0:1], v22, s28, 0
	s_load_dwordx2 s[0:1], s[22:23], 0x0
	s_load_dwordx2 s[28:29], s[6:7], 0x0
	v_add3_u32 v4, v8, v9, v4
	v_sub_co_u32_e32 v5, vcc, v5, v7
	v_subb_co_u32_e32 v4, vcc, v6, v4, vcc
	s_waitcnt lgkmcnt(0)
	v_mul_lo_u32 v6, s0, v4
	v_mul_lo_u32 v7, s1, v5
	v_mad_u64_u32 v[1:2], s[0:1], s0, v5, v[1:2]
	v_mul_lo_u32 v4, s28, v4
	v_mul_lo_u32 v8, s29, v5
	v_mad_u64_u32 v[20:21], s[0:1], s28, v5, v[20:21]
	s_add_u32 s26, s26, 1
	s_addc_u32 s27, s27, 0
	s_add_u32 s6, s6, 8
	v_add3_u32 v21, v8, v21, v4
	s_addc_u32 s7, s7, 0
	v_mov_b32_e32 v4, s14
	s_add_u32 s22, s22, 8
	v_mov_b32_e32 v5, s15
	s_addc_u32 s23, s23, 0
	v_cmp_ge_u64_e32 vcc, s[26:27], v[4:5]
	s_add_u32 s24, s24, 8
	v_add3_u32 v2, v7, v2, v6
	s_addc_u32 s25, s25, 0
	s_cbranch_vccnz .LBB0_9
; %bb.7:                                ;   in Loop: Header=BB0_2 Depth=1
	v_mov_b32_e32 v5, v22
	v_mov_b32_e32 v6, v23
	s_branch .LBB0_2
.LBB0_8:
	v_mov_b32_e32 v21, v2
	v_mov_b32_e32 v23, v6
	;; [unrolled: 1-line block ×4, first 2 shown]
.LBB0_9:
	s_load_dwordx2 s[0:1], s[4:5], 0x28
	s_lshl_b64 s[14:15], s[14:15], 3
	s_add_u32 s4, s18, s14
	s_addc_u32 s5, s19, s15
                                        ; implicit-def: $vgpr26
                                        ; implicit-def: $vgpr25
	s_waitcnt lgkmcnt(0)
	v_cmp_gt_u64_e32 vcc, s[0:1], v[22:23]
	v_cmp_le_u64_e64 s[0:1], s[0:1], v[22:23]
	s_and_saveexec_b64 s[6:7], s[0:1]
	s_xor_b64 s[0:1], exec, s[6:7]
; %bb.10:
	s_mov_b32 s6, 0x11bb4a5
	v_mul_hi_u32 v1, v0, s6
	v_mul_u32_u24_e32 v1, 0xe7, v1
	v_sub_u32_e32 v26, v0, v1
	v_add_u32_e32 v25, 0xe7, v26
                                        ; implicit-def: $vgpr0
                                        ; implicit-def: $vgpr1_vgpr2
; %bb.11:
	s_or_saveexec_b64 s[6:7], s[0:1]
	s_load_dwordx2 s[4:5], s[4:5], 0x0
                                        ; implicit-def: $vgpr5
                                        ; implicit-def: $vgpr13
                                        ; implicit-def: $vgpr17
                                        ; implicit-def: $vgpr3
                                        ; implicit-def: $vgpr7
                                        ; implicit-def: $vgpr9
                                        ; implicit-def: $vgpr19
                                        ; implicit-def: $vgpr15
                                        ; implicit-def: $vgpr11
	s_xor_b64 exec, exec, s[6:7]
	s_cbranch_execz .LBB0_15
; %bb.12:
	s_add_u32 s0, s16, s14
	s_mov_b32 s14, 0x11bb4a5
	v_mul_hi_u32 v3, v0, s14
	s_addc_u32 s1, s17, s15
	s_load_dwordx2 s[0:1], s[0:1], 0x0
	v_mul_u32_u24_e32 v3, 0xe7, v3
	v_sub_u32_e32 v26, v0, v3
	v_mad_u64_u32 v[3:4], s[14:15], s2, v26, 0
	s_waitcnt lgkmcnt(0)
	v_mul_lo_u32 v9, s1, v22
	v_mul_lo_u32 v10, s0, v23
	v_mad_u64_u32 v[5:6], s[0:1], s0, v22, 0
	v_mov_b32_e32 v0, v4
	v_mad_u64_u32 v[7:8], s[0:1], s3, v26, v[0:1]
	v_add3_u32 v6, v6, v10, v9
	v_lshlrev_b64 v[5:6], 3, v[5:6]
	v_mov_b32_e32 v4, v7
	v_mov_b32_e32 v0, s9
	v_add_co_u32_e64 v7, s[0:1], s8, v5
	v_add_u32_e32 v9, 0x21b, v26
	v_addc_co_u32_e64 v8, s[0:1], v0, v6, s[0:1]
	v_mad_u64_u32 v[5:6], s[0:1], s2, v9, 0
	v_lshlrev_b64 v[0:1], 3, v[1:2]
	v_lshlrev_b64 v[2:3], 3, v[3:4]
	v_add_co_u32_e64 v0, s[0:1], v7, v0
	v_mov_b32_e32 v4, v6
	v_addc_co_u32_e64 v1, s[0:1], v8, v1, s[0:1]
	v_mad_u64_u32 v[6:7], s[0:1], s3, v9, v[4:5]
	v_add_u32_e32 v11, 0x436, v26
	v_mad_u64_u32 v[7:8], s[0:1], s2, v11, 0
	v_add_co_u32_e64 v9, s[0:1], v0, v2
	v_mov_b32_e32 v4, v8
	v_addc_co_u32_e64 v10, s[0:1], v1, v3, s[0:1]
	v_lshlrev_b64 v[2:3], 3, v[5:6]
	v_mad_u64_u32 v[4:5], s[0:1], s3, v11, v[4:5]
	v_add_u32_e32 v25, 0xe7, v26
	v_mad_u64_u32 v[5:6], s[0:1], s2, v25, 0
	v_add_co_u32_e64 v14, s[0:1], v0, v2
	v_mov_b32_e32 v8, v4
	v_mov_b32_e32 v4, v6
	v_addc_co_u32_e64 v15, s[0:1], v1, v3, s[0:1]
	v_lshlrev_b64 v[2:3], 3, v[7:8]
	v_mad_u64_u32 v[6:7], s[0:1], s3, v25, v[4:5]
	v_add_u32_e32 v11, 0x302, v26
	v_mad_u64_u32 v[7:8], s[0:1], s2, v11, 0
	v_add_co_u32_e64 v18, s[0:1], v0, v2
	v_mov_b32_e32 v4, v8
	v_addc_co_u32_e64 v19, s[0:1], v1, v3, s[0:1]
	v_lshlrev_b64 v[2:3], 3, v[5:6]
	v_mad_u64_u32 v[4:5], s[0:1], s3, v11, v[4:5]
	v_add_co_u32_e64 v27, s[0:1], v0, v2
	v_mov_b32_e32 v8, v4
	v_add_u32_e32 v4, 0x51d, v26
	v_addc_co_u32_e64 v28, s[0:1], v1, v3, s[0:1]
	v_lshlrev_b64 v[2:3], 3, v[7:8]
	v_mad_u64_u32 v[6:7], s[0:1], s2, v4, 0
	v_add_co_u32_e64 v29, s[0:1], v0, v2
	v_mov_b32_e32 v2, v7
	v_addc_co_u32_e64 v30, s[0:1], v1, v3, s[0:1]
	v_mad_u64_u32 v[7:8], s[0:1], s3, v4, v[2:3]
	global_load_dwordx2 v[4:5], v[9:10], off
	global_load_dwordx2 v[12:13], v[14:15], off
	;; [unrolled: 1-line block ×4, first 2 shown]
                                        ; implicit-def: $vgpr14
                                        ; implicit-def: $vgpr18
	v_lshlrev_b64 v[6:7], 3, v[6:7]
	v_add_co_u32_e64 v10, s[0:1], v0, v6
	v_addc_co_u32_e64 v11, s[0:1], v1, v7, s[0:1]
	global_load_dwordx2 v[6:7], v[29:30], off
	global_load_dwordx2 v[8:9], v[10:11], off
	s_movk_i32 s0, 0x4d
	v_cmp_gt_u32_e64 s[0:1], s0, v26
                                        ; implicit-def: $vgpr10
	s_and_saveexec_b64 s[8:9], s[0:1]
	s_cbranch_execz .LBB0_14
; %bb.13:
	v_add_u32_e32 v18, 0x1ce, v26
	v_mad_u64_u32 v[10:11], s[0:1], s2, v18, 0
	v_add_u32_e32 v24, 0x3e9, v26
	v_mad_u64_u32 v[14:15], s[0:1], s2, v24, 0
	s_waitcnt vmcnt(4)
	v_mad_u64_u32 v[18:19], s[0:1], s3, v18, v[11:12]
	v_mov_b32_e32 v11, v18
	s_waitcnt vmcnt(3)
	v_mad_u64_u32 v[18:19], s[0:1], s3, v24, v[15:16]
	v_add_u32_e32 v19, 0x604, v26
	v_mad_u64_u32 v[27:28], s[0:1], s2, v19, 0
	v_lshlrev_b64 v[10:11], 3, v[10:11]
	v_mov_b32_e32 v15, v18
	v_add_co_u32_e64 v29, s[0:1], v0, v10
	v_addc_co_u32_e64 v30, s[0:1], v1, v11, s[0:1]
	v_lshlrev_b64 v[10:11], 3, v[14:15]
	v_mov_b32_e32 v14, v28
	v_mad_u64_u32 v[14:15], s[0:1], s3, v19, v[14:15]
	v_add_co_u32_e64 v31, s[0:1], v0, v10
	v_mov_b32_e32 v28, v14
	v_addc_co_u32_e64 v32, s[0:1], v1, v11, s[0:1]
	v_lshlrev_b64 v[10:11], 3, v[27:28]
	v_add_co_u32_e64 v0, s[0:1], v0, v10
	v_addc_co_u32_e64 v1, s[0:1], v1, v11, s[0:1]
	global_load_dwordx2 v[10:11], v[29:30], off
	global_load_dwordx2 v[14:15], v[31:32], off
	;; [unrolled: 1-line block ×3, first 2 shown]
.LBB0_14:
	s_or_b64 exec, exec, s[8:9]
.LBB0_15:
	s_or_b64 exec, exec, s[6:7]
	s_waitcnt vmcnt(4)
	v_add_f32_e32 v0, v4, v12
	s_waitcnt vmcnt(3)
	v_add_f32_e32 v27, v0, v16
	v_add_f32_e32 v0, v12, v16
	v_fmac_f32_e32 v4, -0.5, v0
	v_sub_f32_e32 v0, v13, v17
	v_mov_b32_e32 v29, v4
	v_fmac_f32_e32 v29, 0x3f5db3d7, v0
	v_fmac_f32_e32 v4, 0xbf5db3d7, v0
	v_add_f32_e32 v0, v5, v13
	v_add_f32_e32 v28, v0, v17
	;; [unrolled: 1-line block ×3, first 2 shown]
	v_fmac_f32_e32 v5, -0.5, v0
	v_sub_f32_e32 v0, v12, v16
	v_mov_b32_e32 v30, v5
	v_fmac_f32_e32 v30, 0xbf5db3d7, v0
	v_fmac_f32_e32 v5, 0x3f5db3d7, v0
	s_waitcnt vmcnt(1)
	v_add_f32_e32 v0, v2, v6
	s_waitcnt vmcnt(0)
	v_add_f32_e32 v12, v0, v8
	v_add_f32_e32 v0, v6, v8
	v_fmac_f32_e32 v2, -0.5, v0
	v_sub_f32_e32 v0, v7, v9
	v_mov_b32_e32 v16, v2
	v_fmac_f32_e32 v16, 0x3f5db3d7, v0
	v_fmac_f32_e32 v2, 0xbf5db3d7, v0
	v_add_f32_e32 v0, v3, v7
	v_add_f32_e32 v13, v0, v9
	;; [unrolled: 1-line block ×3, first 2 shown]
	v_fmac_f32_e32 v3, -0.5, v0
	v_sub_f32_e32 v0, v6, v8
	v_mov_b32_e32 v17, v3
	v_fmac_f32_e32 v17, 0xbf5db3d7, v0
	v_fmac_f32_e32 v3, 0x3f5db3d7, v0
	v_add_f32_e32 v0, v18, v14
	v_fma_f32 v0, -0.5, v0, v10
	v_sub_f32_e32 v1, v15, v19
	v_mov_b32_e32 v6, v0
	v_fmac_f32_e32 v6, 0x3f5db3d7, v1
	v_fmac_f32_e32 v0, 0xbf5db3d7, v1
	v_add_f32_e32 v1, v19, v15
	v_fma_f32 v1, -0.5, v1, v11
	v_mad_u32_u24 v24, v26, 24, 0
	v_sub_f32_e32 v8, v14, v18
	v_mov_b32_e32 v7, v1
	s_movk_i32 s0, 0x4d
	v_fmac_f32_e32 v7, 0xbf5db3d7, v8
	v_fmac_f32_e32 v1, 0x3f5db3d7, v8
	ds_write_b64 v24, v[4:5] offset:16
	v_mad_i32_i24 v4, v25, 24, 0
	v_cmp_gt_u32_e64 s[0:1], s0, v26
	ds_write2_b64 v24, v[27:28], v[29:30] offset1:1
	ds_write2_b64 v4, v[12:13], v[16:17] offset1:1
	ds_write_b64 v4, v[2:3] offset:16
	s_and_saveexec_b64 s[2:3], s[0:1]
	s_cbranch_execz .LBB0_17
; %bb.16:
	v_add_f32_e32 v2, v15, v11
	v_add_f32_e32 v3, v19, v2
	;; [unrolled: 1-line block ×4, first 2 shown]
	v_add_u32_e32 v5, 0x2b50, v24
	ds_write2_b64 v5, v[2:3], v[6:7] offset1:1
	ds_write_b64 v24, v[0:1] offset:11104
.LBB0_17:
	s_or_b64 exec, exec, s[2:3]
	s_movk_i32 s0, 0xab
	v_mul_lo_u16_sdwa v2, v26, s0 dst_sel:DWORD dst_unused:UNUSED_PAD src0_sel:BYTE_0 src1_sel:DWORD
	v_lshrrev_b16_e32 v5, 9, v2
	v_mul_lo_u16_e32 v2, 3, v5
	v_sub_u16_e32 v39, v26, v2
	v_mov_b32_e32 v40, 6
	v_mul_u32_u24_sdwa v2, v39, v40 dst_sel:DWORD dst_unused:UNUSED_PAD src0_sel:BYTE_0 src1_sel:DWORD
	v_lshlrev_b32_e32 v2, 3, v2
	s_waitcnt lgkmcnt(0)
	s_barrier
	global_load_dwordx4 v[8:11], v2, s[12:13]
	global_load_dwordx4 v[12:15], v2, s[12:13] offset:16
	global_load_dwordx4 v[16:19], v2, s[12:13] offset:32
	v_lshlrev_b32_e32 v2, 4, v26
	v_lshlrev_b32_e32 v3, 4, v25
	v_sub_u32_e32 v25, v4, v3
	v_sub_u32_e32 v41, v24, v2
	v_add_u32_e32 v42, 0xe00, v41
	v_add_u32_e32 v43, 0x1c80, v41
	ds_read_b64 v[3:4], v25
	ds_read2_b64 v[27:30], v42 offset0:14 offset1:245
	ds_read_b64 v[35:36], v41 offset:11088
	ds_read_b64 v[37:38], v41
	ds_read2_b64 v[31:34], v43 offset0:12 offset1:243
	s_mov_b32 s0, 0x3f5ff5aa
	s_mov_b32 s1, 0x3f3bfb3b
	;; [unrolled: 1-line block ×4, first 2 shown]
	v_mul_u32_u24_e32 v5, 0xa8, v5
	s_movk_i32 s6, 0x87
	s_waitcnt vmcnt(0) lgkmcnt(0)
	s_barrier
	v_mul_f32_e32 v44, v9, v4
	v_mul_f32_e32 v9, v9, v3
	v_mul_f32_e32 v45, v11, v28
	v_mul_f32_e32 v11, v11, v27
	v_mul_f32_e32 v48, v17, v34
	v_mul_f32_e32 v17, v17, v33
	v_mul_f32_e32 v49, v19, v36
	v_mul_f32_e32 v19, v19, v35
	v_mul_f32_e32 v46, v13, v30
	v_mul_f32_e32 v13, v13, v29
	v_mul_f32_e32 v47, v15, v32
	v_mul_f32_e32 v15, v15, v31
	v_fmac_f32_e32 v9, v8, v4
	v_fmac_f32_e32 v11, v10, v28
	;; [unrolled: 1-line block ×4, first 2 shown]
	v_fma_f32 v3, v8, v3, -v44
	v_fma_f32 v8, v12, v29, -v46
	v_fmac_f32_e32 v13, v12, v30
	v_fmac_f32_e32 v15, v14, v32
	v_add_f32_e32 v28, v9, v19
	v_add_f32_e32 v29, v11, v17
	v_fma_f32 v4, v10, v27, -v45
	v_fma_f32 v10, v14, v31, -v47
	;; [unrolled: 1-line block ×4, first 2 shown]
	v_add_f32_e32 v30, v13, v15
	v_sub_f32_e32 v19, v9, v19
	v_add_f32_e32 v9, v29, v28
	v_add_f32_e32 v16, v3, v14
	v_add_f32_e32 v18, v4, v12
	v_add_f32_e32 v27, v8, v10
	v_sub_f32_e32 v14, v3, v14
	v_sub_f32_e32 v3, v4, v12
	;; [unrolled: 1-line block ×5, first 2 shown]
	v_add_f32_e32 v9, v30, v9
	v_add_f32_e32 v8, v18, v16
	v_sub_f32_e32 v15, v18, v16
	v_sub_f32_e32 v17, v27, v18
	;; [unrolled: 1-line block ×4, first 2 shown]
	v_add_f32_e32 v10, v12, v3
	v_sub_f32_e32 v11, v12, v3
	v_sub_f32_e32 v31, v3, v14
	v_add_f32_e32 v3, v13, v4
	v_sub_f32_e32 v32, v13, v4
	v_sub_f32_e32 v33, v4, v19
	v_add_f32_e32 v4, v9, v38
	v_add_f32_e32 v8, v27, v8
	v_mul_f32_e32 v36, 0xbf08b237, v11
	v_mul_f32_e32 v11, 0x3d64c772, v29
	v_mov_b32_e32 v45, v4
	v_sub_f32_e32 v16, v16, v27
	v_sub_f32_e32 v27, v28, v30
	v_add_f32_e32 v34, v10, v14
	v_add_f32_e32 v35, v3, v19
	v_mul_f32_e32 v10, 0x3d64c772, v17
	v_add_f32_e32 v3, v8, v37
	v_fma_f32 v11, v18, s1, -v11
	v_fma_f32 v37, v31, s0, -v36
	v_fmac_f32_e32 v45, 0xbf955555, v9
	v_sub_f32_e32 v28, v14, v12
	v_mul_f32_e32 v16, 0x3f4a47b2, v16
	v_mul_f32_e32 v27, 0x3f4a47b2, v27
	;; [unrolled: 1-line block ×4, first 2 shown]
	v_fma_f32 v10, v15, s1, -v10
	v_mov_b32_e32 v44, v3
	v_fmac_f32_e32 v37, 0x3ee1c552, v34
	v_add_f32_e32 v11, v11, v45
	v_sub_f32_e32 v19, v19, v13
	v_fma_f32 v14, v15, s3, -v16
	v_fma_f32 v15, v18, s3, -v27
	;; [unrolled: 1-line block ×4, first 2 shown]
	v_fmac_f32_e32 v44, 0xbf955555, v8
	v_add_f32_e32 v9, v37, v11
	v_sub_f32_e32 v11, v11, v37
	v_mul_f32_e32 v13, 0x3f5ff5aa, v33
	v_add_f32_e32 v15, v15, v45
	v_fmac_f32_e32 v18, 0x3ee1c552, v34
	v_fmac_f32_e32 v16, 0x3d64c772, v17
	v_fmac_f32_e32 v27, 0x3d64c772, v29
	v_fmac_f32_e32 v36, 0x3eae86e6, v28
	v_fmac_f32_e32 v32, 0x3eae86e6, v19
	v_mov_b32_e32 v37, 3
	v_fma_f32 v30, v19, s2, -v13
	v_sub_f32_e32 v13, v15, v18
	v_add_f32_e32 v15, v18, v15
	v_add_f32_e32 v18, v16, v44
	;; [unrolled: 1-line block ×3, first 2 shown]
	v_fmac_f32_e32 v36, 0x3ee1c552, v34
	v_fmac_f32_e32 v32, 0x3ee1c552, v35
	v_lshlrev_b32_sdwa v27, v37, v39 dst_sel:DWORD dst_unused:UNUSED_PAD src0_sel:DWORD src1_sel:BYTE_0
	v_add_f32_e32 v10, v10, v44
	v_fmac_f32_e32 v38, 0x3ee1c552, v35
	v_add_f32_e32 v14, v14, v44
	v_fmac_f32_e32 v30, 0x3ee1c552, v35
	v_add_f32_e32 v16, v32, v18
	v_sub_f32_e32 v17, v19, v36
	v_add3_u32 v5, 0, v5, v27
	v_sub_f32_e32 v8, v10, v38
	v_add_f32_e32 v10, v38, v10
	v_add_f32_e32 v12, v30, v14
	v_sub_f32_e32 v14, v14, v30
	v_sub_f32_e32 v18, v18, v32
	v_add_f32_e32 v19, v36, v19
	ds_write2_b64 v5, v[3:4], v[16:17] offset1:3
	ds_write2_b64 v5, v[12:13], v[8:9] offset0:6 offset1:9
	ds_write2_b64 v5, v[10:11], v[14:15] offset0:12 offset1:15
	ds_write_b64 v5, v[18:19] offset:144
	v_mul_lo_u16_sdwa v3, v26, s6 dst_sel:DWORD dst_unused:UNUSED_PAD src0_sel:BYTE_0 src1_sel:DWORD
	v_sub_u16_sdwa v4, v26, v3 dst_sel:DWORD dst_unused:UNUSED_PAD src0_sel:DWORD src1_sel:BYTE_1
	v_lshrrev_b16_e32 v4, 1, v4
	v_and_b32_e32 v4, 0x7f, v4
	v_add_u16_sdwa v3, v4, v3 dst_sel:DWORD dst_unused:UNUSED_PAD src0_sel:DWORD src1_sel:BYTE_1
	v_lshrrev_b16_e32 v3, 4, v3
	v_and_b32_e32 v38, 15, v3
	v_mul_lo_u16_e32 v3, 21, v38
	v_sub_u16_e32 v39, v26, v3
	v_mul_u32_u24_sdwa v3, v39, v40 dst_sel:DWORD dst_unused:UNUSED_PAD src0_sel:BYTE_0 src1_sel:DWORD
	v_lshlrev_b32_e32 v3, 3, v3
	s_waitcnt lgkmcnt(0)
	s_barrier
	global_load_dwordx4 v[8:11], v3, s[12:13] offset:144
	global_load_dwordx4 v[12:15], v3, s[12:13] offset:160
	;; [unrolled: 1-line block ×3, first 2 shown]
	ds_read_b64 v[3:4], v25
	ds_read2_b64 v[27:30], v42 offset0:14 offset1:245
	ds_read2_b64 v[31:34], v43 offset0:12 offset1:243
	ds_read_b64 v[35:36], v41 offset:11088
	s_movk_i32 s6, 0x93
	s_waitcnt vmcnt(2) lgkmcnt(3)
	v_mul_f32_e32 v5, v9, v4
	v_mul_f32_e32 v25, v9, v3
	s_waitcnt lgkmcnt(2)
	v_mul_f32_e32 v9, v11, v28
	v_mul_f32_e32 v11, v11, v27
	s_waitcnt vmcnt(1)
	v_mul_f32_e32 v40, v13, v30
	v_mul_f32_e32 v13, v13, v29
	v_fma_f32 v5, v8, v3, -v5
	s_waitcnt lgkmcnt(1)
	v_mul_f32_e32 v3, v15, v32
	v_fmac_f32_e32 v25, v8, v4
	v_fma_f32 v27, v10, v27, -v9
	v_fmac_f32_e32 v11, v10, v28
	v_fma_f32 v10, v12, v29, -v40
	v_fmac_f32_e32 v13, v12, v30
	v_fma_f32 v12, v14, v31, -v3
	v_mul_f32_e32 v15, v15, v31
	s_waitcnt vmcnt(0)
	v_mul_f32_e32 v3, v17, v34
	v_mul_f32_e32 v17, v17, v33
	s_waitcnt lgkmcnt(0)
	v_mul_f32_e32 v8, v19, v36
	v_fmac_f32_e32 v15, v14, v32
	v_fma_f32 v14, v16, v33, -v3
	v_fmac_f32_e32 v17, v16, v34
	ds_read_b64 v[3:4], v41
	v_fma_f32 v16, v18, v35, -v8
	v_mul_f32_e32 v19, v19, v35
	v_fmac_f32_e32 v19, v18, v36
	v_add_f32_e32 v18, v5, v16
	v_add_f32_e32 v29, v27, v14
	;; [unrolled: 1-line block ×10, first 2 shown]
	v_sub_f32_e32 v11, v11, v17
	v_sub_f32_e32 v10, v12, v10
	;; [unrolled: 1-line block ×3, first 2 shown]
	s_waitcnt lgkmcnt(0)
	v_add_f32_e32 v9, v34, v4
	v_sub_f32_e32 v4, v25, v19
	v_sub_f32_e32 v17, v12, v11
	v_add_f32_e32 v8, v31, v3
	v_sub_f32_e32 v3, v5, v16
	v_mov_b32_e32 v19, v9
	v_sub_f32_e32 v25, v29, v18
	v_add_f32_e32 v16, v12, v11
	v_sub_f32_e32 v11, v11, v4
	v_mul_f32_e32 v36, 0xbf08b237, v17
	v_sub_f32_e32 v18, v18, v30
	v_sub_f32_e32 v5, v27, v14
	v_mov_b32_e32 v13, v8
	v_fmac_f32_e32 v19, 0xbf955555, v34
	v_sub_f32_e32 v27, v30, v29
	v_add_f32_e32 v34, v16, v4
	v_fma_f32 v41, v11, s0, -v36
	v_sub_f32_e32 v4, v4, v12
	v_mul_f32_e32 v30, 0x3f4a47b2, v18
	v_mul_f32_e32 v11, 0x3f5ff5aa, v11
	v_fmac_f32_e32 v13, 0xbf955555, v31
	v_fma_f32 v12, v25, s3, -v30
	v_fma_f32 v11, v4, s2, -v11
	v_add_f32_e32 v18, v12, v13
	v_fmac_f32_e32 v11, 0x3ee1c552, v34
	v_sub_f32_e32 v31, v33, v32
	v_add_f32_e32 v14, v10, v5
	v_sub_f32_e32 v15, v10, v5
	v_sub_f32_e32 v5, v5, v3
	v_add_f32_e32 v12, v11, v18
	v_sub_f32_e32 v18, v18, v11
	v_sub_f32_e32 v11, v28, v33
	v_sub_f32_e32 v29, v32, v28
	v_add_f32_e32 v32, v14, v3
	v_mul_f32_e32 v35, 0xbf08b237, v15
	v_mul_f32_e32 v15, 0x3d64c772, v31
	v_sub_f32_e32 v3, v3, v10
	v_mul_f32_e32 v10, 0x3f4a47b2, v11
	v_fmac_f32_e32 v36, 0x3eae86e6, v4
	v_mul_f32_e32 v4, 0x3f5ff5aa, v5
	v_mul_f32_e32 v14, 0x3d64c772, v27
	v_fma_f32 v15, v29, s1, -v15
	v_fma_f32 v40, v5, s0, -v35
	;; [unrolled: 1-line block ×3, first 2 shown]
	v_fmac_f32_e32 v10, 0x3d64c772, v31
	v_fmac_f32_e32 v35, 0x3eae86e6, v3
	v_fma_f32 v3, v3, s2, -v4
	v_fma_f32 v14, v25, s1, -v14
	v_add_f32_e32 v17, v15, v19
	v_fmac_f32_e32 v30, 0x3d64c772, v27
	v_add_f32_e32 v5, v10, v19
	v_add_f32_e32 v19, v11, v19
	v_fmac_f32_e32 v3, 0x3ee1c552, v32
	s_movk_i32 s0, 0x498
	v_add_f32_e32 v16, v14, v13
	v_fmac_f32_e32 v40, 0x3ee1c552, v32
	v_fmac_f32_e32 v41, 0x3ee1c552, v34
	v_add_f32_e32 v4, v30, v13
	v_fmac_f32_e32 v36, 0x3ee1c552, v34
	v_fmac_f32_e32 v35, 0x3ee1c552, v32
	v_sub_f32_e32 v13, v19, v3
	v_add_f32_e32 v19, v3, v19
	v_mul_u32_u24_sdwa v3, v38, s0 dst_sel:DWORD dst_unused:UNUSED_PAD src0_sel:WORD_0 src1_sel:DWORD
	v_lshlrev_b32_sdwa v25, v37, v39 dst_sel:DWORD dst_unused:UNUSED_PAD src0_sel:DWORD src1_sel:BYTE_0
	v_sub_f32_e32 v14, v16, v41
	v_add_f32_e32 v15, v40, v17
	v_add_f32_e32 v16, v41, v16
	v_sub_f32_e32 v17, v17, v40
	v_add_f32_e32 v10, v36, v4
	v_sub_f32_e32 v11, v5, v35
	v_sub_f32_e32 v4, v4, v36
	v_add_f32_e32 v5, v35, v5
	v_add3_u32 v3, 0, v3, v25
	v_cmp_gt_u32_e64 s[0:1], s6, v26
	s_barrier
	ds_write2_b64 v3, v[8:9], v[10:11] offset1:21
	ds_write2_b64 v3, v[12:13], v[14:15] offset0:42 offset1:63
	ds_write2_b64 v3, v[16:17], v[18:19] offset0:84 offset1:105
	ds_write_b64 v3, v[4:5] offset:1008
	s_waitcnt lgkmcnt(0)
	s_barrier
	s_waitcnt lgkmcnt(0)
                                        ; implicit-def: $vgpr25
	s_and_saveexec_b64 s[2:3], s[0:1]
	s_cbranch_execz .LBB0_19
; %bb.18:
	v_sub_u32_e32 v0, 0, v2
	v_add_u32_e32 v24, v24, v0
	v_add_u32_e32 v0, 0x800, v24
	ds_read2_b64 v[12:15], v0 offset0:38 offset1:185
	v_add_u32_e32 v0, 0x1000, v24
	ds_read2_b64 v[16:19], v0 offset0:76 offset1:223
	;; [unrolled: 2-line block ×3, first 2 shown]
	v_add_u32_e32 v0, 0x2400, v24
	ds_read2_b64 v[8:11], v24 offset1:147
	ds_read2_b64 v[0:3], v0 offset0:24 offset1:171
	ds_read_b64 v[24:25], v24 offset:11760
.LBB0_19:
	s_or_b64 exec, exec, s[2:3]
	v_cmp_gt_u32_e64 s[2:3], s6, v26
	s_and_b64 s[2:3], vcc, s[2:3]
	s_and_saveexec_b64 s[6:7], s[2:3]
	s_cbranch_execz .LBB0_21
; %bb.20:
	v_add_u32_e32 v27, 0xffffff6d, v26
	v_cndmask_b32_e64 v27, v27, v26, s[0:1]
	v_mul_i32_i24_e32 v27, 10, v27
	v_mov_b32_e32 v28, 0
	v_lshlrev_b64 v[27:28], 3, v[27:28]
	v_mov_b32_e32 v29, s13
	v_add_co_u32_e32 v47, vcc, s12, v27
	v_addc_co_u32_e32 v48, vcc, v29, v28, vcc
	global_load_dwordx4 v[27:30], v[47:48], off offset:1152
	global_load_dwordx4 v[31:34], v[47:48], off offset:1216
	global_load_dwordx4 v[35:38], v[47:48], off offset:1200
	global_load_dwordx4 v[39:42], v[47:48], off offset:1168
	global_load_dwordx4 v[43:46], v[47:48], off offset:1184
	v_mul_lo_u32 v47, s5, v22
	v_mul_lo_u32 v48, s4, v23
	v_mad_u64_u32 v[22:23], s[0:1], s4, v22, 0
	s_mov_b32 s0, 0xbf75a155
	s_mov_b32 s1, 0x3f575c64
	v_add3_u32 v23, v23, v48, v47
	s_mov_b32 s2, 0xbf27a4f4
	s_mov_b32 s3, 0x3ed4b147
	;; [unrolled: 1-line block ×3, first 2 shown]
	v_lshlrev_b64 v[22:23], 3, v[22:23]
	v_lshlrev_b64 v[20:21], 3, v[20:21]
	v_add_co_u32_e32 v22, vcc, s10, v22
	s_waitcnt vmcnt(4) lgkmcnt(2)
	v_mul_f32_e32 v47, v11, v28
	s_waitcnt vmcnt(3) lgkmcnt(0)
	v_mul_f32_e32 v48, v25, v34
	v_mul_f32_e32 v34, v24, v34
	;; [unrolled: 1-line block ×7, first 2 shown]
	s_waitcnt vmcnt(0)
	v_mul_f32_e32 v55, v19, v44
	v_mul_f32_e32 v44, v18, v44
	v_fma_f32 v24, v24, v33, -v48
	v_fmac_f32_e32 v34, v25, v33
	v_fma_f32 v25, v2, v31, -v49
	v_fmac_f32_e32 v32, v3, v31
	;; [unrolled: 2-line block ×3, first 2 shown]
	v_mul_f32_e32 v51, v1, v38
	v_mul_f32_e32 v38, v0, v38
	;; [unrolled: 1-line block ×4, first 2 shown]
	v_fma_f32 v12, v12, v29, -v50
	v_fmac_f32_e32 v30, v13, v29
	v_fmac_f32_e32 v44, v19, v43
	v_sub_f32_e32 v10, v31, v24
	v_sub_f32_e32 v19, v28, v34
	v_mul_f32_e32 v53, v17, v42
	v_mul_f32_e32 v54, v7, v36
	;; [unrolled: 1-line block ×4, first 2 shown]
	v_fma_f32 v13, v0, v37, -v51
	v_fmac_f32_e32 v38, v1, v37
	v_fma_f32 v14, v14, v39, -v52
	v_fmac_f32_e32 v40, v15, v39
	v_sub_f32_e32 v11, v12, v25
	v_add_f32_e32 v33, v31, v24
	v_sub_f32_e32 v37, v30, v32
	v_mul_f32_e32 v47, 0xbe903f40, v10
	v_mul_f32_e32 v49, 0xbe903f40, v19
	v_mul_f32_e32 v56, v5, v46
	v_fma_f32 v15, v6, v35, -v54
	v_fmac_f32_e32 v36, v7, v35
	v_fma_f32 v16, v16, v41, -v53
	v_fmac_f32_e32 v42, v17, v41
	v_add_f32_e32 v27, v28, v34
	v_add_f32_e32 v35, v12, v25
	v_sub_f32_e32 v39, v14, v13
	v_mul_f32_e32 v48, 0x3f0a6770, v11
	v_mul_f32_e32 v50, 0x3f0a6770, v37
	v_mov_b32_e32 v0, v47
	v_fma_f32 v1, v33, s0, -v49
	v_sub_f32_e32 v54, v40, v38
	v_fma_f32 v17, v18, v43, -v55
	v_fma_f32 v18, v4, v45, -v56
	v_add_f32_e32 v29, v30, v32
	v_sub_f32_e32 v43, v16, v15
	v_mul_f32_e32 v51, 0xbf4178ce, v39
	v_fma_f32 v2, v35, s1, -v50
	v_mov_b32_e32 v3, v48
	v_add_f32_e32 v1, v8, v1
	v_fmac_f32_e32 v0, 0xbf75a155, v27
	v_add_f32_e32 v53, v14, v13
	v_mul_f32_e32 v55, 0xbf4178ce, v54
	v_sub_f32_e32 v57, v42, v36
	v_mul_f32_e32 v46, v4, v46
	v_add_f32_e32 v41, v40, v38
	v_mul_f32_e32 v52, 0x3f68dda4, v43
	v_mov_b32_e32 v4, v51
	v_fmac_f32_e32 v3, 0x3f575c64, v29
	v_add_f32_e32 v1, v1, v2
	v_add_f32_e32 v0, v9, v0
	v_fma_f32 v2, v53, s2, -v55
	v_add_f32_e32 v56, v16, v15
	v_mul_f32_e32 v58, 0x3f68dda4, v57
	v_sub_f32_e32 v59, v17, v18
	v_fmac_f32_e32 v46, v5, v45
	v_add_f32_e32 v45, v42, v36
	v_mov_b32_e32 v5, v52
	v_fmac_f32_e32 v4, 0xbf27a4f4, v41
	v_add_f32_e32 v0, v0, v3
	v_add_f32_e32 v1, v1, v2
	v_fma_f32 v2, v56, s3, -v58
	v_mul_f32_e32 v60, 0xbf7d64f0, v59
	v_fmac_f32_e32 v5, 0x3ed4b147, v45
	v_add_f32_e32 v0, v0, v4
	v_add_f32_e32 v2, v1, v2
	;; [unrolled: 1-line block ×3, first 2 shown]
	v_mov_b32_e32 v1, v60
	v_sub_f32_e32 v63, v44, v46
	v_add_f32_e32 v0, v0, v5
	v_fmac_f32_e32 v1, 0xbe11bafb, v61
	v_add_f32_e32 v62, v17, v18
	v_mul_f32_e32 v64, 0xbf7d64f0, v63
	v_add_f32_e32 v1, v0, v1
	v_fma_f32 v0, v62, s4, -v64
	v_mul_f32_e32 v65, 0xbf4178ce, v10
	v_add_f32_e32 v0, v2, v0
	v_mov_b32_e32 v2, v65
	v_mul_f32_e32 v66, 0x3f7d64f0, v11
	v_fmac_f32_e32 v2, 0xbf27a4f4, v27
	v_mov_b32_e32 v3, v66
	v_add_f32_e32 v2, v9, v2
	v_fmac_f32_e32 v3, 0xbe11bafb, v29
	v_mul_f32_e32 v67, 0xbf0a6770, v39
	v_add_f32_e32 v2, v2, v3
	v_mov_b32_e32 v3, v67
	v_fmac_f32_e32 v3, 0x3f575c64, v41
	v_mul_f32_e32 v68, 0xbe903f40, v43
	v_add_f32_e32 v2, v2, v3
	v_mov_b32_e32 v3, v68
	v_fmac_f32_e32 v3, 0xbf75a155, v45
	v_mul_f32_e32 v69, 0xbf4178ce, v19
	v_add_f32_e32 v2, v2, v3
	v_fma_f32 v3, v33, s2, -v69
	v_mul_f32_e32 v70, 0x3f7d64f0, v37
	v_add_f32_e32 v3, v8, v3
	v_fma_f32 v4, v35, s4, -v70
	;; [unrolled: 3-line block ×4, first 2 shown]
	v_mul_f32_e32 v73, 0x3f68dda4, v59
	v_add_f32_e32 v4, v3, v4
	v_mov_b32_e32 v3, v73
	v_fmac_f32_e32 v3, 0x3ed4b147, v61
	v_mul_f32_e32 v74, 0x3f68dda4, v63
	v_add_f32_e32 v3, v2, v3
	v_fma_f32 v2, v62, s3, -v74
	v_mul_f32_e32 v75, 0xbf7d64f0, v10
	v_add_f32_e32 v2, v4, v2
	v_mov_b32_e32 v4, v75
	v_mul_f32_e32 v76, 0x3e903f40, v11
	v_fmac_f32_e32 v4, 0xbe11bafb, v27
	v_mov_b32_e32 v5, v76
	v_add_f32_e32 v4, v9, v4
	v_fmac_f32_e32 v5, 0xbf75a155, v29
	v_mul_f32_e32 v77, 0x3f68dda4, v39
	v_add_f32_e32 v4, v4, v5
	v_mov_b32_e32 v5, v77
	v_fmac_f32_e32 v5, 0x3ed4b147, v41
	v_mul_f32_e32 v78, 0xbf0a6770, v43
	v_add_f32_e32 v4, v4, v5
	v_mov_b32_e32 v5, v78
	v_fmac_f32_e32 v5, 0x3f575c64, v45
	v_mul_f32_e32 v79, 0xbf7d64f0, v19
	v_add_f32_e32 v4, v4, v5
	v_fma_f32 v5, v33, s4, -v79
	v_mul_f32_e32 v80, 0x3e903f40, v37
	v_add_f32_e32 v5, v8, v5
	v_fma_f32 v6, v35, s0, -v80
	;; [unrolled: 3-line block ×4, first 2 shown]
	v_mul_f32_e32 v83, 0xbf4178ce, v59
	v_add_f32_e32 v6, v5, v6
	v_mov_b32_e32 v5, v83
	v_fmac_f32_e32 v5, 0xbf27a4f4, v61
	v_mul_f32_e32 v84, 0xbf4178ce, v63
	v_add_f32_e32 v5, v4, v5
	v_fma_f32 v4, v62, s2, -v84
	v_mul_f32_e32 v85, 0xbf68dda4, v10
	v_add_f32_e32 v4, v6, v4
	v_mov_b32_e32 v6, v85
	v_mul_f32_e32 v86, 0xbf4178ce, v11
	v_fmac_f32_e32 v6, 0x3ed4b147, v27
	v_mov_b32_e32 v7, v86
	v_add_f32_e32 v6, v9, v6
	v_fmac_f32_e32 v7, 0xbf27a4f4, v29
	v_mul_f32_e32 v87, 0x3e903f40, v39
	v_add_f32_e32 v6, v6, v7
	v_mov_b32_e32 v7, v87
	v_fmac_f32_e32 v7, 0xbf75a155, v41
	v_mul_f32_e32 v88, 0x3f7d64f0, v43
	v_add_f32_e32 v6, v6, v7
	v_mov_b32_e32 v7, v88
	v_fmac_f32_e32 v7, 0xbe11bafb, v45
	v_mul_f32_e32 v89, 0xbf68dda4, v19
	v_add_f32_e32 v6, v6, v7
	v_fma_f32 v7, v33, s3, -v89
	v_mul_f32_e32 v90, 0xbf4178ce, v37
	v_add_f32_e32 v7, v8, v7
	v_fma_f32 v91, v35, s2, -v90
	v_add_f32_e32 v7, v7, v91
	v_mul_f32_e32 v91, 0x3e903f40, v54
	v_fma_f32 v92, v53, s0, -v91
	v_add_f32_e32 v7, v7, v92
	v_mul_f32_e32 v92, 0x3f7d64f0, v57
	v_fma_f32 v93, v56, s4, -v92
	v_mul_f32_e32 v94, 0x3f0a6770, v59
	v_add_f32_e32 v93, v7, v93
	v_mov_b32_e32 v7, v94
	v_fmac_f32_e32 v7, 0x3f575c64, v61
	v_mul_f32_e32 v95, 0x3f0a6770, v63
	v_add_f32_e32 v7, v6, v7
	v_fma_f32 v6, v62, s1, -v95
	v_add_f32_e32 v6, v93, v6
	v_mul_f32_e32 v93, 0xbf0a6770, v10
	v_mov_b32_e32 v10, v93
	v_mul_f32_e32 v96, 0xbf68dda4, v11
	v_fmac_f32_e32 v10, 0x3f575c64, v27
	v_mov_b32_e32 v11, v96
	v_add_f32_e32 v10, v9, v10
	v_fmac_f32_e32 v11, 0x3ed4b147, v29
	v_mul_f32_e32 v39, 0xbf7d64f0, v39
	v_add_f32_e32 v10, v10, v11
	v_mov_b32_e32 v11, v39
	v_fmac_f32_e32 v11, 0xbe11bafb, v41
	v_mul_f32_e32 v43, 0xbf4178ce, v43
	v_add_f32_e32 v10, v10, v11
	v_mov_b32_e32 v11, v43
	v_fmac_f32_e32 v11, 0xbf27a4f4, v45
	v_mul_f32_e32 v97, 0xbf0a6770, v19
	v_add_f32_e32 v10, v10, v11
	v_fma_f32 v11, v33, s1, -v97
	v_mul_f32_e32 v37, 0xbf68dda4, v37
	v_add_f32_e32 v11, v8, v11
	v_fma_f32 v19, v35, s3, -v37
	;; [unrolled: 3-line block ×4, first 2 shown]
	v_mul_f32_e32 v59, 0xbe903f40, v59
	v_add_f32_e32 v19, v11, v19
	v_mov_b32_e32 v11, v59
	v_fmac_f32_e32 v11, 0xbf75a155, v61
	v_mul_f32_e32 v63, 0xbe903f40, v63
	v_add_f32_e32 v11, v10, v11
	v_fma_f32 v10, v62, s0, -v63
	v_add_f32_e32 v10, v19, v10
	v_add_f32_e32 v19, v9, v28
	;; [unrolled: 1-line block ×8, first 2 shown]
	v_fma_f32 v14, v27, s0, -v47
	v_add_f32_e32 v12, v15, v12
	v_add_f32_e32 v14, v9, v14
	v_fma_f32 v15, v29, s1, -v48
	v_add_f32_e32 v14, v14, v15
	v_fma_f32 v15, v41, s2, -v51
	;; [unrolled: 2-line block ×3, first 2 shown]
	v_fmac_f32_e32 v49, 0xbf75a155, v33
	v_add_f32_e32 v14, v14, v15
	v_add_f32_e32 v15, v8, v49
	v_fmac_f32_e32 v50, 0x3f575c64, v35
	v_add_f32_e32 v15, v15, v50
	v_fmac_f32_e32 v55, 0xbf27a4f4, v53
	;; [unrolled: 2-line block ×3, first 2 shown]
	v_add_f32_e32 v16, v15, v58
	v_fma_f32 v15, v61, s4, -v60
	v_fmac_f32_e32 v64, 0xbe11bafb, v62
	v_add_f32_e32 v15, v14, v15
	v_add_f32_e32 v14, v16, v64
	v_fma_f32 v16, v27, s2, -v65
	v_add_f32_e32 v19, v19, v30
	v_add_f32_e32 v16, v9, v16
	v_fma_f32 v17, v29, s4, -v66
	;; [unrolled: 3-line block ×4, first 2 shown]
	v_fmac_f32_e32 v69, 0xbf27a4f4, v33
	v_add_f32_e32 v19, v19, v44
	v_add_f32_e32 v16, v16, v17
	;; [unrolled: 1-line block ×3, first 2 shown]
	v_fmac_f32_e32 v70, 0xbe11bafb, v35
	v_add_f32_e32 v19, v19, v46
	v_add_f32_e32 v17, v17, v70
	v_fmac_f32_e32 v71, 0x3f575c64, v53
	v_add_f32_e32 v19, v36, v19
	v_add_f32_e32 v17, v17, v71
	;; [unrolled: 3-line block ×3, first 2 shown]
	v_fma_f32 v17, v61, s3, -v73
	v_fmac_f32_e32 v74, 0x3ed4b147, v62
	v_add_f32_e32 v19, v32, v19
	v_add_f32_e32 v17, v16, v17
	;; [unrolled: 1-line block ×3, first 2 shown]
	v_fma_f32 v18, v27, s4, -v75
	v_add_f32_e32 v12, v13, v12
	v_add_f32_e32 v13, v34, v19
	;; [unrolled: 1-line block ×3, first 2 shown]
	v_fma_f32 v19, v29, s0, -v76
	v_add_f32_e32 v18, v18, v19
	v_fma_f32 v19, v41, s3, -v77
	v_add_f32_e32 v18, v18, v19
	v_fma_f32 v19, v45, s1, -v78
	v_fmac_f32_e32 v79, 0xbe11bafb, v33
	v_add_f32_e32 v18, v18, v19
	v_add_f32_e32 v19, v8, v79
	v_fmac_f32_e32 v80, 0xbf75a155, v35
	v_add_f32_e32 v19, v19, v80
	v_fmac_f32_e32 v81, 0x3ed4b147, v53
	v_add_f32_e32 v12, v25, v12
	v_add_f32_e32 v19, v19, v81
	v_fmac_f32_e32 v82, 0x3f575c64, v56
	v_add_f32_e32 v12, v24, v12
	v_add_f32_e32 v24, v19, v82
	v_fma_f32 v19, v61, s2, -v83
	v_fmac_f32_e32 v84, 0xbf27a4f4, v62
	v_add_f32_e32 v19, v18, v19
	v_add_f32_e32 v18, v24, v84
	v_fma_f32 v24, v27, s3, -v85
	v_add_f32_e32 v24, v9, v24
	v_fma_f32 v25, v29, s2, -v86
	;; [unrolled: 2-line block ×4, first 2 shown]
	v_fmac_f32_e32 v89, 0x3ed4b147, v33
	v_add_f32_e32 v24, v24, v25
	v_add_f32_e32 v25, v8, v89
	v_fmac_f32_e32 v90, 0xbf27a4f4, v35
	v_add_f32_e32 v25, v25, v90
	v_fmac_f32_e32 v91, 0xbf75a155, v53
	;; [unrolled: 2-line block ×3, first 2 shown]
	v_add_f32_e32 v28, v25, v92
	v_fma_f32 v25, v61, s1, -v94
	v_fmac_f32_e32 v95, 0x3f575c64, v62
	v_fma_f32 v27, v27, s1, -v93
	v_add_f32_e32 v25, v24, v25
	v_add_f32_e32 v24, v28, v95
	v_fma_f32 v28, v29, s3, -v96
	v_add_f32_e32 v9, v9, v27
	v_add_f32_e32 v9, v9, v28
	v_fma_f32 v27, v41, s4, -v39
	v_add_f32_e32 v9, v9, v27
	v_fma_f32 v27, v45, s2, -v43
	;; [unrolled: 2-line block ×3, first 2 shown]
	v_add_f32_e32 v9, v9, v27
	v_mad_u64_u32 v[27:28], s[0:1], s20, v26, 0
	v_fmac_f32_e32 v97, 0x3f575c64, v33
	v_add_f32_e32 v8, v8, v97
	v_fmac_f32_e32 v37, 0x3ed4b147, v35
	v_add_f32_e32 v8, v8, v37
	;; [unrolled: 2-line block ×3, first 2 shown]
	v_mov_b32_e32 v8, v28
	v_mad_u64_u32 v[28:29], s[0:1], s21, v26, v[8:9]
	v_mov_b32_e32 v29, s11
	v_fmac_f32_e32 v57, 0xbf27a4f4, v56
	v_addc_co_u32_e32 v23, vcc, v29, v23, vcc
	v_add_f32_e32 v8, v30, v57
	v_add_co_u32_e32 v30, vcc, v22, v20
	v_addc_co_u32_e32 v31, vcc, v23, v21, vcc
	v_lshlrev_b64 v[20:21], 3, v[27:28]
	v_add_u32_e32 v27, 0x93, v26
	v_mad_u64_u32 v[22:23], s[0:1], s20, v27, 0
	v_add_u32_e32 v32, 0x126, v26
	v_add_co_u32_e32 v20, vcc, v30, v20
	v_mad_u64_u32 v[27:28], s[0:1], s21, v27, v[23:24]
	v_mad_u64_u32 v[28:29], s[0:1], s20, v32, 0
	v_addc_co_u32_e32 v21, vcc, v31, v21, vcc
	global_store_dwordx2 v[20:21], v[12:13], off
	v_mov_b32_e32 v20, v29
	v_mov_b32_e32 v23, v27
	v_mad_u64_u32 v[20:21], s[0:1], s21, v32, v[20:21]
	v_lshlrev_b64 v[12:13], 3, v[22:23]
	v_add_u32_e32 v23, 0x24c, v26
	v_add_co_u32_e32 v12, vcc, v30, v12
	v_addc_co_u32_e32 v13, vcc, v31, v13, vcc
	v_mov_b32_e32 v29, v20
	v_add_u32_e32 v20, 0x1b9, v26
	global_store_dwordx2 v[12:13], v[10:11], off
	v_mad_u64_u32 v[12:13], s[0:1], s20, v20, 0
	v_lshlrev_b64 v[10:11], 3, v[28:29]
	v_fmac_f32_e32 v63, 0xbf75a155, v62
	v_mad_u64_u32 v[20:21], s[0:1], s21, v20, v[13:14]
	v_mad_u64_u32 v[21:22], s[0:1], s20, v23, 0
	v_add_co_u32_e32 v10, vcc, v30, v10
	v_addc_co_u32_e32 v11, vcc, v31, v11, vcc
	global_store_dwordx2 v[10:11], v[6:7], off
	v_mov_b32_e32 v10, v22
	v_mov_b32_e32 v13, v20
	v_mad_u64_u32 v[10:11], s[0:1], s21, v23, v[10:11]
	v_lshlrev_b64 v[6:7], 3, v[12:13]
	v_add_f32_e32 v8, v8, v63
	v_add_co_u32_e32 v6, vcc, v30, v6
	v_addc_co_u32_e32 v7, vcc, v31, v7, vcc
	v_mov_b32_e32 v22, v10
	v_add_u32_e32 v10, 0x2df, v26
	global_store_dwordx2 v[6:7], v[4:5], off
	v_mad_u64_u32 v[6:7], s[0:1], s20, v10, 0
	v_add_u32_e32 v13, 0x372, v26
	v_lshlrev_b64 v[4:5], 3, v[21:22]
	v_mad_u64_u32 v[10:11], s[0:1], s21, v10, v[7:8]
	v_mad_u64_u32 v[11:12], s[0:1], s20, v13, 0
	v_add_co_u32_e32 v4, vcc, v30, v4
	v_addc_co_u32_e32 v5, vcc, v31, v5, vcc
	global_store_dwordx2 v[4:5], v[2:3], off
	v_mov_b32_e32 v4, v12
	v_mov_b32_e32 v7, v10
	v_mad_u64_u32 v[4:5], s[0:1], s21, v13, v[4:5]
	v_lshlrev_b64 v[2:3], 3, v[6:7]
	v_add_u32_e32 v6, 0x498, v26
	v_add_co_u32_e32 v2, vcc, v30, v2
	v_addc_co_u32_e32 v3, vcc, v31, v3, vcc
	v_mov_b32_e32 v12, v4
	v_add_u32_e32 v4, 0x405, v26
	global_store_dwordx2 v[2:3], v[0:1], off
	v_mad_u64_u32 v[2:3], s[0:1], s20, v4, 0
	v_lshlrev_b64 v[0:1], 3, v[11:12]
	v_mad_u64_u32 v[3:4], s[0:1], s21, v4, v[3:4]
	v_mad_u64_u32 v[4:5], s[0:1], s20, v6, 0
	v_add_co_u32_e32 v0, vcc, v30, v0
	v_addc_co_u32_e32 v1, vcc, v31, v1, vcc
	global_store_dwordx2 v[0:1], v[14:15], off
	v_lshlrev_b64 v[0:1], 3, v[2:3]
	v_mov_b32_e32 v2, v5
	v_mad_u64_u32 v[2:3], s[0:1], s21, v6, v[2:3]
	v_add_co_u32_e32 v0, vcc, v30, v0
	v_addc_co_u32_e32 v1, vcc, v31, v1, vcc
	v_mov_b32_e32 v5, v2
	global_store_dwordx2 v[0:1], v[16:17], off
	v_lshlrev_b64 v[0:1], 3, v[4:5]
	v_add_u32_e32 v4, 0x52b, v26
	v_mad_u64_u32 v[2:3], s[0:1], s20, v4, 0
	v_add_u32_e32 v6, 0x5be, v26
	v_add_co_u32_e32 v0, vcc, v30, v0
	v_mad_u64_u32 v[3:4], s[0:1], s21, v4, v[3:4]
	v_mad_u64_u32 v[4:5], s[0:1], s20, v6, 0
	v_addc_co_u32_e32 v1, vcc, v31, v1, vcc
	global_store_dwordx2 v[0:1], v[18:19], off
	v_lshlrev_b64 v[0:1], 3, v[2:3]
	v_mov_b32_e32 v2, v5
	v_mad_u64_u32 v[2:3], s[0:1], s21, v6, v[2:3]
	v_add_co_u32_e32 v0, vcc, v30, v0
	v_addc_co_u32_e32 v1, vcc, v31, v1, vcc
	v_mov_b32_e32 v5, v2
	global_store_dwordx2 v[0:1], v[24:25], off
	v_lshlrev_b64 v[0:1], 3, v[4:5]
	v_add_co_u32_e32 v0, vcc, v30, v0
	v_addc_co_u32_e32 v1, vcc, v31, v1, vcc
	global_store_dwordx2 v[0:1], v[8:9], off
.LBB0_21:
	s_endpgm
	.section	.rodata,"a",@progbits
	.p2align	6, 0x0
	.amdhsa_kernel fft_rtc_fwd_len1617_factors_3_7_7_11_wgs_231_tpt_231_sp_op_CI_CI_sbrr_dirReg
		.amdhsa_group_segment_fixed_size 0
		.amdhsa_private_segment_fixed_size 0
		.amdhsa_kernarg_size 104
		.amdhsa_user_sgpr_count 6
		.amdhsa_user_sgpr_private_segment_buffer 1
		.amdhsa_user_sgpr_dispatch_ptr 0
		.amdhsa_user_sgpr_queue_ptr 0
		.amdhsa_user_sgpr_kernarg_segment_ptr 1
		.amdhsa_user_sgpr_dispatch_id 0
		.amdhsa_user_sgpr_flat_scratch_init 0
		.amdhsa_user_sgpr_private_segment_size 0
		.amdhsa_uses_dynamic_stack 0
		.amdhsa_system_sgpr_private_segment_wavefront_offset 0
		.amdhsa_system_sgpr_workgroup_id_x 1
		.amdhsa_system_sgpr_workgroup_id_y 0
		.amdhsa_system_sgpr_workgroup_id_z 0
		.amdhsa_system_sgpr_workgroup_info 0
		.amdhsa_system_vgpr_workitem_id 0
		.amdhsa_next_free_vgpr 98
		.amdhsa_next_free_sgpr 32
		.amdhsa_reserve_vcc 1
		.amdhsa_reserve_flat_scratch 0
		.amdhsa_float_round_mode_32 0
		.amdhsa_float_round_mode_16_64 0
		.amdhsa_float_denorm_mode_32 3
		.amdhsa_float_denorm_mode_16_64 3
		.amdhsa_dx10_clamp 1
		.amdhsa_ieee_mode 1
		.amdhsa_fp16_overflow 0
		.amdhsa_exception_fp_ieee_invalid_op 0
		.amdhsa_exception_fp_denorm_src 0
		.amdhsa_exception_fp_ieee_div_zero 0
		.amdhsa_exception_fp_ieee_overflow 0
		.amdhsa_exception_fp_ieee_underflow 0
		.amdhsa_exception_fp_ieee_inexact 0
		.amdhsa_exception_int_div_zero 0
	.end_amdhsa_kernel
	.text
.Lfunc_end0:
	.size	fft_rtc_fwd_len1617_factors_3_7_7_11_wgs_231_tpt_231_sp_op_CI_CI_sbrr_dirReg, .Lfunc_end0-fft_rtc_fwd_len1617_factors_3_7_7_11_wgs_231_tpt_231_sp_op_CI_CI_sbrr_dirReg
                                        ; -- End function
	.section	.AMDGPU.csdata,"",@progbits
; Kernel info:
; codeLenInByte = 6860
; NumSgprs: 36
; NumVgprs: 98
; ScratchSize: 0
; MemoryBound: 0
; FloatMode: 240
; IeeeMode: 1
; LDSByteSize: 0 bytes/workgroup (compile time only)
; SGPRBlocks: 4
; VGPRBlocks: 24
; NumSGPRsForWavesPerEU: 36
; NumVGPRsForWavesPerEU: 98
; Occupancy: 2
; WaveLimiterHint : 1
; COMPUTE_PGM_RSRC2:SCRATCH_EN: 0
; COMPUTE_PGM_RSRC2:USER_SGPR: 6
; COMPUTE_PGM_RSRC2:TRAP_HANDLER: 0
; COMPUTE_PGM_RSRC2:TGID_X_EN: 1
; COMPUTE_PGM_RSRC2:TGID_Y_EN: 0
; COMPUTE_PGM_RSRC2:TGID_Z_EN: 0
; COMPUTE_PGM_RSRC2:TIDIG_COMP_CNT: 0
	.type	__hip_cuid_78c62ef1b9d3d2de,@object ; @__hip_cuid_78c62ef1b9d3d2de
	.section	.bss,"aw",@nobits
	.globl	__hip_cuid_78c62ef1b9d3d2de
__hip_cuid_78c62ef1b9d3d2de:
	.byte	0                               ; 0x0
	.size	__hip_cuid_78c62ef1b9d3d2de, 1

	.ident	"AMD clang version 19.0.0git (https://github.com/RadeonOpenCompute/llvm-project roc-6.4.0 25133 c7fe45cf4b819c5991fe208aaa96edf142730f1d)"
	.section	".note.GNU-stack","",@progbits
	.addrsig
	.addrsig_sym __hip_cuid_78c62ef1b9d3d2de
	.amdgpu_metadata
---
amdhsa.kernels:
  - .args:
      - .actual_access:  read_only
        .address_space:  global
        .offset:         0
        .size:           8
        .value_kind:     global_buffer
      - .offset:         8
        .size:           8
        .value_kind:     by_value
      - .actual_access:  read_only
        .address_space:  global
        .offset:         16
        .size:           8
        .value_kind:     global_buffer
      - .actual_access:  read_only
        .address_space:  global
        .offset:         24
        .size:           8
        .value_kind:     global_buffer
      - .actual_access:  read_only
        .address_space:  global
        .offset:         32
        .size:           8
        .value_kind:     global_buffer
      - .offset:         40
        .size:           8
        .value_kind:     by_value
      - .actual_access:  read_only
        .address_space:  global
        .offset:         48
        .size:           8
        .value_kind:     global_buffer
      - .actual_access:  read_only
        .address_space:  global
        .offset:         56
        .size:           8
        .value_kind:     global_buffer
      - .offset:         64
        .size:           4
        .value_kind:     by_value
      - .actual_access:  read_only
        .address_space:  global
        .offset:         72
        .size:           8
        .value_kind:     global_buffer
      - .actual_access:  read_only
        .address_space:  global
        .offset:         80
        .size:           8
        .value_kind:     global_buffer
      - .actual_access:  read_only
        .address_space:  global
        .offset:         88
        .size:           8
        .value_kind:     global_buffer
      - .actual_access:  write_only
        .address_space:  global
        .offset:         96
        .size:           8
        .value_kind:     global_buffer
    .group_segment_fixed_size: 0
    .kernarg_segment_align: 8
    .kernarg_segment_size: 104
    .language:       OpenCL C
    .language_version:
      - 2
      - 0
    .max_flat_workgroup_size: 231
    .name:           fft_rtc_fwd_len1617_factors_3_7_7_11_wgs_231_tpt_231_sp_op_CI_CI_sbrr_dirReg
    .private_segment_fixed_size: 0
    .sgpr_count:     36
    .sgpr_spill_count: 0
    .symbol:         fft_rtc_fwd_len1617_factors_3_7_7_11_wgs_231_tpt_231_sp_op_CI_CI_sbrr_dirReg.kd
    .uniform_work_group_size: 1
    .uses_dynamic_stack: false
    .vgpr_count:     98
    .vgpr_spill_count: 0
    .wavefront_size: 64
amdhsa.target:   amdgcn-amd-amdhsa--gfx906
amdhsa.version:
  - 1
  - 2
...

	.end_amdgpu_metadata
